;; amdgpu-corpus repo=ROCm/rocFFT kind=compiled arch=gfx950 opt=O3
	.text
	.amdgcn_target "amdgcn-amd-amdhsa--gfx950"
	.amdhsa_code_object_version 6
	.protected	fft_rtc_back_len1232_factors_2_2_2_2_11_7_wgs_176_tpt_176_halfLds_sp_op_CI_CI_unitstride_sbrr_dirReg ; -- Begin function fft_rtc_back_len1232_factors_2_2_2_2_11_7_wgs_176_tpt_176_halfLds_sp_op_CI_CI_unitstride_sbrr_dirReg
	.globl	fft_rtc_back_len1232_factors_2_2_2_2_11_7_wgs_176_tpt_176_halfLds_sp_op_CI_CI_unitstride_sbrr_dirReg
	.p2align	8
	.type	fft_rtc_back_len1232_factors_2_2_2_2_11_7_wgs_176_tpt_176_halfLds_sp_op_CI_CI_unitstride_sbrr_dirReg,@function
fft_rtc_back_len1232_factors_2_2_2_2_11_7_wgs_176_tpt_176_halfLds_sp_op_CI_CI_unitstride_sbrr_dirReg: ; @fft_rtc_back_len1232_factors_2_2_2_2_11_7_wgs_176_tpt_176_halfLds_sp_op_CI_CI_unitstride_sbrr_dirReg
; %bb.0:
	s_load_dwordx4 s[4:7], s[0:1], 0x58
	s_load_dwordx4 s[8:11], s[0:1], 0x0
	;; [unrolled: 1-line block ×3, first 2 shown]
	v_mul_u32_u24_e32 v1, 0x175, v0
	v_add_u32_sdwa v10, s2, v1 dst_sel:DWORD dst_unused:UNUSED_PAD src0_sel:DWORD src1_sel:WORD_1
	v_mov_b32_e32 v6, 0
	s_waitcnt lgkmcnt(0)
	v_cmp_lt_u64_e64 s[2:3], s[10:11], 2
	v_mov_b32_e32 v11, v6
	s_and_b64 vcc, exec, s[2:3]
	v_mov_b64_e32 v[8:9], 0
	s_cbranch_vccnz .LBB0_8
; %bb.1:
	s_load_dwordx2 s[2:3], s[0:1], 0x10
	s_add_u32 s16, s14, 8
	s_addc_u32 s17, s15, 0
	s_add_u32 s18, s12, 8
	s_addc_u32 s19, s13, 0
	s_waitcnt lgkmcnt(0)
	s_add_u32 s20, s2, 8
	v_mov_b64_e32 v[8:9], 0
	s_addc_u32 s21, s3, 0
	s_mov_b64 s[22:23], 1
	v_mov_b64_e32 v[2:3], v[8:9]
.LBB0_2:                                ; =>This Inner Loop Header: Depth=1
	s_load_dwordx2 s[24:25], s[20:21], 0x0
                                        ; implicit-def: $vgpr4_vgpr5
	s_waitcnt lgkmcnt(0)
	v_or_b32_e32 v7, s25, v11
	v_cmp_ne_u64_e32 vcc, 0, v[6:7]
	s_and_saveexec_b64 s[2:3], vcc
	s_xor_b64 s[26:27], exec, s[2:3]
	s_cbranch_execz .LBB0_4
; %bb.3:                                ;   in Loop: Header=BB0_2 Depth=1
	v_cvt_f32_u32_e32 v1, s24
	v_cvt_f32_u32_e32 v4, s25
	s_sub_u32 s2, 0, s24
	s_subb_u32 s3, 0, s25
	v_fmac_f32_e32 v1, 0x4f800000, v4
	v_rcp_f32_e32 v1, v1
	s_nop 0
	v_mul_f32_e32 v1, 0x5f7ffffc, v1
	v_mul_f32_e32 v4, 0x2f800000, v1
	v_trunc_f32_e32 v4, v4
	v_fmac_f32_e32 v1, 0xcf800000, v4
	v_cvt_u32_f32_e32 v7, v4
	v_cvt_u32_f32_e32 v1, v1
	v_mul_lo_u32 v4, s2, v7
	v_mul_hi_u32 v12, s2, v1
	v_mul_lo_u32 v5, s3, v1
	v_add_u32_e32 v12, v12, v4
	v_mul_lo_u32 v14, s2, v1
	v_add_u32_e32 v15, v12, v5
	v_mul_hi_u32 v4, v1, v14
	v_mul_hi_u32 v13, v1, v15
	v_mul_lo_u32 v12, v1, v15
	v_mov_b32_e32 v5, v6
	v_lshl_add_u64 v[4:5], v[4:5], 0, v[12:13]
	v_mul_hi_u32 v13, v7, v14
	v_mul_lo_u32 v14, v7, v14
	v_add_co_u32_e32 v4, vcc, v4, v14
	v_mul_hi_u32 v12, v7, v15
	s_nop 0
	v_addc_co_u32_e32 v4, vcc, v5, v13, vcc
	v_mov_b32_e32 v5, v6
	s_nop 0
	v_addc_co_u32_e32 v13, vcc, 0, v12, vcc
	v_mul_lo_u32 v12, v7, v15
	v_lshl_add_u64 v[4:5], v[4:5], 0, v[12:13]
	v_add_co_u32_e32 v1, vcc, v1, v4
	v_mul_lo_u32 v12, s2, v1
	s_nop 0
	v_addc_co_u32_e32 v7, vcc, v7, v5, vcc
	v_mul_lo_u32 v4, s2, v7
	v_mul_hi_u32 v5, s2, v1
	v_add_u32_e32 v4, v5, v4
	v_mul_lo_u32 v5, s3, v1
	v_add_u32_e32 v14, v4, v5
	v_mul_hi_u32 v16, v7, v12
	v_mul_lo_u32 v17, v7, v12
	v_mul_hi_u32 v5, v1, v14
	v_mul_lo_u32 v4, v1, v14
	v_mul_hi_u32 v12, v1, v12
	v_mov_b32_e32 v13, v6
	v_lshl_add_u64 v[4:5], v[12:13], 0, v[4:5]
	v_add_co_u32_e32 v4, vcc, v4, v17
	v_mul_hi_u32 v15, v7, v14
	s_nop 0
	v_addc_co_u32_e32 v4, vcc, v5, v16, vcc
	v_mul_lo_u32 v12, v7, v14
	s_nop 0
	v_addc_co_u32_e32 v13, vcc, 0, v15, vcc
	v_mov_b32_e32 v5, v6
	v_lshl_add_u64 v[4:5], v[4:5], 0, v[12:13]
	v_add_co_u32_e32 v1, vcc, v1, v4
	v_mul_hi_u32 v12, v10, v1
	s_nop 0
	v_addc_co_u32_e32 v7, vcc, v7, v5, vcc
	v_mad_u64_u32 v[4:5], s[2:3], v10, v7, 0
	v_mov_b32_e32 v13, v6
	v_lshl_add_u64 v[4:5], v[12:13], 0, v[4:5]
	v_mad_u64_u32 v[14:15], s[2:3], v11, v1, 0
	v_add_co_u32_e32 v1, vcc, v4, v14
	v_mad_u64_u32 v[12:13], s[2:3], v11, v7, 0
	s_nop 0
	v_addc_co_u32_e32 v4, vcc, v5, v15, vcc
	v_mov_b32_e32 v5, v6
	s_nop 0
	v_addc_co_u32_e32 v13, vcc, 0, v13, vcc
	v_lshl_add_u64 v[4:5], v[4:5], 0, v[12:13]
	v_mul_lo_u32 v1, s25, v4
	v_mul_lo_u32 v7, s24, v5
	v_mad_u64_u32 v[12:13], s[2:3], s24, v4, 0
	v_add3_u32 v1, v13, v7, v1
	v_sub_u32_e32 v7, v11, v1
	v_mov_b32_e32 v13, s25
	v_sub_co_u32_e32 v16, vcc, v10, v12
	v_lshl_add_u64 v[14:15], v[4:5], 0, 1
	s_nop 0
	v_subb_co_u32_e64 v7, s[2:3], v7, v13, vcc
	v_subrev_co_u32_e64 v12, s[2:3], s24, v16
	v_subb_co_u32_e32 v1, vcc, v11, v1, vcc
	s_nop 0
	v_subbrev_co_u32_e64 v7, s[2:3], 0, v7, s[2:3]
	v_cmp_le_u32_e64 s[2:3], s25, v7
	v_cmp_le_u32_e32 vcc, s25, v1
	s_nop 0
	v_cndmask_b32_e64 v13, 0, -1, s[2:3]
	v_cmp_le_u32_e64 s[2:3], s24, v12
	s_nop 1
	v_cndmask_b32_e64 v12, 0, -1, s[2:3]
	v_cmp_eq_u32_e64 s[2:3], s25, v7
	s_nop 1
	v_cndmask_b32_e64 v7, v13, v12, s[2:3]
	v_lshl_add_u64 v[12:13], v[4:5], 0, 2
	v_cmp_ne_u32_e64 s[2:3], 0, v7
	s_nop 1
	v_cndmask_b32_e64 v7, v15, v13, s[2:3]
	v_cndmask_b32_e64 v13, 0, -1, vcc
	v_cmp_le_u32_e32 vcc, s24, v16
	s_nop 1
	v_cndmask_b32_e64 v15, 0, -1, vcc
	v_cmp_eq_u32_e32 vcc, s25, v1
	s_nop 1
	v_cndmask_b32_e32 v1, v13, v15, vcc
	v_cmp_ne_u32_e32 vcc, 0, v1
	v_cndmask_b32_e64 v1, v14, v12, s[2:3]
	s_nop 0
	v_cndmask_b32_e32 v5, v5, v7, vcc
	v_cndmask_b32_e32 v4, v4, v1, vcc
.LBB0_4:                                ;   in Loop: Header=BB0_2 Depth=1
	s_andn2_saveexec_b64 s[2:3], s[26:27]
	s_cbranch_execz .LBB0_6
; %bb.5:                                ;   in Loop: Header=BB0_2 Depth=1
	v_cvt_f32_u32_e32 v1, s24
	s_sub_i32 s26, 0, s24
	v_rcp_iflag_f32_e32 v1, v1
	s_nop 0
	v_mul_f32_e32 v1, 0x4f7ffffe, v1
	v_cvt_u32_f32_e32 v1, v1
	v_mul_lo_u32 v4, s26, v1
	v_mul_hi_u32 v4, v1, v4
	v_add_u32_e32 v1, v1, v4
	v_mul_hi_u32 v1, v10, v1
	v_mul_lo_u32 v4, v1, s24
	v_sub_u32_e32 v4, v10, v4
	v_add_u32_e32 v5, 1, v1
	v_subrev_u32_e32 v7, s24, v4
	v_cmp_le_u32_e32 vcc, s24, v4
	s_nop 1
	v_cndmask_b32_e32 v4, v4, v7, vcc
	v_cndmask_b32_e32 v1, v1, v5, vcc
	v_add_u32_e32 v5, 1, v1
	v_cmp_le_u32_e32 vcc, s24, v4
	s_nop 1
	v_cndmask_b32_e32 v4, v1, v5, vcc
	v_mov_b32_e32 v5, v6
.LBB0_6:                                ;   in Loop: Header=BB0_2 Depth=1
	s_or_b64 exec, exec, s[2:3]
	v_mad_u64_u32 v[12:13], s[2:3], v4, s24, 0
	s_load_dwordx2 s[2:3], s[18:19], 0x0
	v_mul_lo_u32 v1, v5, s24
	v_mul_lo_u32 v7, v4, s25
	s_load_dwordx2 s[24:25], s[16:17], 0x0
	s_add_u32 s22, s22, 1
	v_add3_u32 v1, v13, v7, v1
	v_sub_co_u32_e32 v7, vcc, v10, v12
	s_addc_u32 s23, s23, 0
	s_nop 0
	v_subb_co_u32_e32 v1, vcc, v11, v1, vcc
	s_add_u32 s16, s16, 8
	s_waitcnt lgkmcnt(0)
	v_mul_lo_u32 v10, s2, v1
	v_mul_lo_u32 v11, s3, v7
	v_mad_u64_u32 v[8:9], s[2:3], s2, v7, v[8:9]
	s_addc_u32 s17, s17, 0
	v_add3_u32 v9, v11, v9, v10
	v_mul_lo_u32 v1, s24, v1
	v_mul_lo_u32 v10, s25, v7
	v_mad_u64_u32 v[2:3], s[2:3], s24, v7, v[2:3]
	s_add_u32 s18, s18, 8
	v_add3_u32 v3, v10, v3, v1
	s_addc_u32 s19, s19, 0
	v_mov_b64_e32 v[10:11], s[10:11]
	s_add_u32 s20, s20, 8
	v_cmp_ge_u64_e32 vcc, s[22:23], v[10:11]
	s_addc_u32 s21, s21, 0
	s_cbranch_vccnz .LBB0_9
; %bb.7:                                ;   in Loop: Header=BB0_2 Depth=1
	v_mov_b64_e32 v[10:11], v[4:5]
	s_branch .LBB0_2
.LBB0_8:
	v_mov_b64_e32 v[2:3], v[8:9]
	v_mov_b64_e32 v[4:5], v[10:11]
.LBB0_9:
	s_load_dwordx2 s[2:3], s[0:1], 0x28
	s_lshl_b64 s[16:17], s[10:11], 3
	s_add_u32 s10, s14, s16
	s_addc_u32 s11, s15, s17
                                        ; implicit-def: $sgpr14
                                        ; implicit-def: $vgpr7
	s_waitcnt lgkmcnt(0)
	v_cmp_gt_u64_e64 s[0:1], s[2:3], v[4:5]
	v_cmp_le_u64_e32 vcc, s[2:3], v[4:5]
	s_and_saveexec_b64 s[2:3], vcc
	s_xor_b64 s[2:3], exec, s[2:3]
; %bb.10:
	s_mov_b32 s14, 0x1745d18
	v_mul_hi_u32 v1, v0, s14
	v_mul_u32_u24_e32 v1, 0xb0, v1
	v_sub_u32_e32 v7, v0, v1
	s_mov_b32 s14, 0
                                        ; implicit-def: $vgpr0
                                        ; implicit-def: $vgpr8_vgpr9
; %bb.11:
	s_or_saveexec_b64 s[2:3], s[2:3]
	s_load_dwordx2 s[10:11], s[10:11], 0x0
	v_mov_b32_e32 v6, s14
                                        ; implicit-def: $vgpr24
                                        ; implicit-def: $vgpr14
                                        ; implicit-def: $vgpr10
                                        ; implicit-def: $vgpr16
                                        ; implicit-def: $vgpr12
                                        ; implicit-def: $vgpr20
                                        ; implicit-def: $vgpr18
                                        ; implicit-def: $vgpr22
	s_xor_b64 exec, exec, s[2:3]
	s_cbranch_execz .LBB0_15
; %bb.12:
	s_add_u32 s12, s12, s16
	s_addc_u32 s13, s13, s17
	s_load_dwordx2 s[12:13], s[12:13], 0x0
	s_mov_b32 s14, 0x1745d18
                                        ; implicit-def: $vgpr15
                                        ; implicit-def: $vgpr25
	s_waitcnt lgkmcnt(0)
	v_mul_lo_u32 v1, s13, v4
	v_mul_lo_u32 v6, s12, v5
	v_mad_u64_u32 v[10:11], s[12:13], s12, v4, 0
	v_add3_u32 v11, v11, v6, v1
	v_mul_hi_u32 v1, v0, s14
	v_mul_u32_u24_e32 v1, 0xb0, v1
	v_sub_u32_e32 v7, v0, v1
	v_lshl_add_u64 v[0:1], v[10:11], 3, s[4:5]
	v_lshl_add_u64 v[0:1], v[8:9], 3, v[0:1]
	v_lshlrev_b32_e32 v8, 3, v7
	v_mov_b32_e32 v9, 0
	v_lshl_add_u64 v[0:1], v[0:1], 0, v[8:9]
	v_add_co_u32_e32 v8, vcc, 0x1000, v0
	s_movk_i32 s4, 0x58
	s_nop 0
	v_addc_co_u32_e32 v9, vcc, 0, v1, vcc
	global_load_dwordx2 v[10:11], v[0:1], off
	global_load_dwordx2 v[12:13], v[0:1], off offset:1408
	global_load_dwordx2 v[16:17], v[8:9], off offset:832
	;; [unrolled: 1-line block ×5, first 2 shown]
	v_cmp_gt_u32_e32 vcc, s4, v7
	s_and_saveexec_b64 s[4:5], vcc
	s_cbranch_execz .LBB0_14
; %bb.13:
	v_add_co_u32_e32 v8, vcc, 0x1000, v0
	s_nop 1
	v_addc_co_u32_e32 v9, vcc, 0, v1, vcc
	v_add_co_u32_e32 v0, vcc, 0x2000, v0
	s_nop 1
	v_addc_co_u32_e32 v1, vcc, 0, v1, vcc
	global_load_dwordx2 v[24:25], v[8:9], off offset:128
	global_load_dwordx2 v[14:15], v[0:1], off offset:960
.LBB0_14:
	s_or_b64 exec, exec, s[4:5]
	v_mov_b32_e32 v6, v7
.LBB0_15:
	s_or_b64 exec, exec, s[2:3]
	s_waitcnt vmcnt(3)
	v_sub_f32_e32 v9, v10, v16
	s_movk_i32 s2, 0x57
	v_fma_f32 v8, v10, 2.0, -v9
	s_waitcnt vmcnt(1)
	v_sub_f32_e32 v27, v12, v20
	s_waitcnt vmcnt(0)
	v_sub_f32_e32 v31, v18, v22
	v_pk_add_f32 v[0:1], v[24:25], v[14:15] neg_lo:[0,1] neg_hi:[0,1]
	v_add_u32_e32 v20, 0xb0, v7
	v_add_u32_e32 v29, 0x160, v7
	;; [unrolled: 1-line block ×3, first 2 shown]
	v_cmp_lt_u32_e32 vcc, s2, v7
	s_movk_i32 s2, 0x58
	v_fma_f32 v26, v12, 2.0, -v27
	v_fma_f32 v30, v18, 2.0, -v31
	;; [unrolled: 1-line block ×3, first 2 shown]
	v_lshl_add_u32 v16, v7, 3, 0
	v_lshl_add_u32 v18, v20, 3, 0
	;; [unrolled: 1-line block ×3, first 2 shown]
	v_cmp_gt_u32_e64 s[2:3], s2, v7
	v_lshl_add_u32 v28, v10, 3, 0
	ds_write_b64 v16, v[8:9]
	ds_write_b64 v18, v[26:27]
	;; [unrolled: 1-line block ×3, first 2 shown]
	s_and_saveexec_b64 s[4:5], s[2:3]
	s_cbranch_execz .LBB0_17
; %bb.16:
	v_mov_b32_e32 v15, v0
	ds_write_b64 v28, v[14:15]
.LBB0_17:
	s_or_b64 exec, exec, s[4:5]
	v_lshlrev_b32_e32 v8, 2, v7
	v_sub_u32_e32 v30, v16, v8
	v_add_u32_e32 v8, 0x900, v30
	s_waitcnt lgkmcnt(0)
	s_barrier
	ds_read2_b32 v[26:27], v30 offset1:176
	ds_read2_b32 v[8:9], v8 offset0:40 offset1:216
	ds_read_b32 v15, v30 offset:1408
	ds_read_b32 v22, v30 offset:3872
	s_and_saveexec_b64 s[4:5], s[2:3]
	s_cbranch_execz .LBB0_19
; %bb.18:
	ds_read_b32 v14, v30 offset:2112
	ds_read_b32 v0, v30 offset:4576
.LBB0_19:
	s_or_b64 exec, exec, s[4:5]
	v_sub_f32_e32 v33, v11, v17
	v_fma_f32 v32, v11, 2.0, -v33
	v_sub_f32_e32 v35, v13, v21
	v_sub_f32_e32 v37, v19, v23
	v_fma_f32 v12, v25, 2.0, -v1
	v_fma_f32 v34, v13, 2.0, -v35
	;; [unrolled: 1-line block ×3, first 2 shown]
	s_waitcnt lgkmcnt(0)
	s_barrier
	ds_write_b64 v16, v[32:33]
	ds_write_b64 v18, v[34:35]
	;; [unrolled: 1-line block ×3, first 2 shown]
	s_and_saveexec_b64 s[4:5], s[2:3]
	s_cbranch_execz .LBB0_21
; %bb.20:
	v_mov_b32_e32 v13, v1
	ds_write_b64 v28, v[12:13]
.LBB0_21:
	s_or_b64 exec, exec, s[4:5]
	v_add_u32_e32 v11, 0x900, v30
	s_waitcnt lgkmcnt(0)
	s_barrier
	ds_read2_b32 v[16:17], v30 offset1:176
	ds_read2_b32 v[18:19], v11 offset0:40 offset1:216
	ds_read_b32 v28, v30 offset:1408
	ds_read_b32 v31, v30 offset:3872
	v_lshlrev_b32_e32 v24, 1, v7
	v_lshlrev_b32_e32 v33, 1, v20
	;; [unrolled: 1-line block ×3, first 2 shown]
	s_and_saveexec_b64 s[4:5], s[2:3]
	s_cbranch_execz .LBB0_23
; %bb.22:
	ds_read_b32 v12, v30 offset:2112
	ds_read_b32 v1, v30 offset:4576
.LBB0_23:
	s_or_b64 exec, exec, s[4:5]
	v_and_b32_e32 v29, 1, v7
	v_lshlrev_b32_e32 v11, 3, v29
	global_load_dwordx2 v[20:21], v11, s[8:9]
	s_movk_i32 s4, 0x1fc
	s_movk_i32 s5, 0x3fc
	s_movk_i32 s12, 0x7fc
	v_and_or_b32 v11, v24, s4, v29
	v_and_or_b32 v13, v33, s5, v29
	;; [unrolled: 1-line block ×3, first 2 shown]
	v_lshl_add_u32 v35, v11, 2, 0
	v_lshl_add_u32 v36, v13, 2, 0
	;; [unrolled: 1-line block ×3, first 2 shown]
	s_waitcnt lgkmcnt(0)
	s_barrier
	s_waitcnt vmcnt(0)
	v_mul_f32_e32 v11, v18, v21
	v_mul_f32_e32 v13, v19, v21
	;; [unrolled: 1-line block ×4, first 2 shown]
	v_fmac_f32_e32 v11, v8, v20
	v_fmac_f32_e32 v13, v9, v20
	;; [unrolled: 1-line block ×4, first 2 shown]
	v_sub_f32_e32 v11, v26, v11
	v_sub_f32_e32 v32, v27, v13
	;; [unrolled: 1-line block ×4, first 2 shown]
	v_fma_f32 v26, v26, 2.0, -v11
	v_fma_f32 v27, v27, 2.0, -v32
	v_fma_f32 v15, v15, 2.0, -v23
	v_fma_f32 v25, v14, 2.0, -v13
	ds_write2_b32 v35, v26, v11 offset1:2
	ds_write2_b32 v36, v27, v32 offset1:2
	;; [unrolled: 1-line block ×3, first 2 shown]
	v_lshlrev_b32_e32 v32, 1, v10
	s_and_saveexec_b64 s[4:5], s[2:3]
	s_cbranch_execz .LBB0_25
; %bb.24:
	s_movk_i32 s12, 0x5fc
	v_and_or_b32 v10, v32, s12, v29
	v_lshl_add_u32 v10, v10, 2, 0
	ds_write2_b32 v10, v25, v13 offset1:2
.LBB0_25:
	s_or_b64 exec, exec, s[4:5]
	v_add_u32_e32 v10, 0x900, v30
	s_waitcnt lgkmcnt(0)
	s_barrier
	ds_read2_b32 v[14:15], v30 offset1:176
	ds_read2_b32 v[10:11], v10 offset0:40 offset1:216
	ds_read_b32 v27, v30 offset:1408
	ds_read_b32 v23, v30 offset:3872
	s_and_saveexec_b64 s[4:5], s[2:3]
	s_cbranch_execz .LBB0_27
; %bb.26:
	ds_read_b32 v25, v30 offset:2112
	ds_read_b32 v13, v30 offset:4576
.LBB0_27:
	s_or_b64 exec, exec, s[4:5]
	v_mul_f32_e32 v8, v8, v21
	v_mul_f32_e32 v9, v9, v21
	v_mul_f32_e32 v0, v0, v21
	v_fma_f32 v8, v18, v20, -v8
	v_fma_f32 v9, v19, v20, -v9
	v_mul_f32_e32 v18, v22, v21
	v_fma_f32 v0, v1, v20, -v0
	v_fma_f32 v18, v31, v20, -v18
	v_sub_f32_e32 v1, v16, v8
	v_sub_f32_e32 v9, v17, v9
	v_sub_f32_e32 v26, v12, v0
	v_fma_f32 v8, v16, 2.0, -v1
	v_fma_f32 v16, v17, 2.0, -v9
	v_sub_f32_e32 v17, v28, v18
	v_fma_f32 v22, v12, 2.0, -v26
	v_fma_f32 v18, v28, 2.0, -v17
	s_waitcnt lgkmcnt(0)
	s_barrier
	ds_write2_b32 v35, v8, v1 offset1:2
	ds_write2_b32 v36, v16, v9 offset1:2
	;; [unrolled: 1-line block ×3, first 2 shown]
	s_and_saveexec_b64 s[4:5], s[2:3]
	s_cbranch_execz .LBB0_29
; %bb.28:
	s_movk_i32 s12, 0x5fc
	v_and_or_b32 v0, v32, s12, v29
	v_lshl_add_u32 v0, v0, 2, 0
	ds_write2_b32 v0, v22, v26 offset1:2
.LBB0_29:
	s_or_b64 exec, exec, s[4:5]
	v_add_u32_e32 v0, 0x900, v30
	s_waitcnt lgkmcnt(0)
	s_barrier
	ds_read2_b32 v[16:17], v30 offset1:176
	ds_read2_b32 v[18:19], v0 offset0:40 offset1:216
	ds_read_b32 v28, v30 offset:1408
	ds_read_b32 v37, v30 offset:3872
	s_and_saveexec_b64 s[4:5], s[2:3]
	s_cbranch_execz .LBB0_31
; %bb.30:
	ds_read_b32 v22, v30 offset:2112
	ds_read_b32 v26, v30 offset:4576
.LBB0_31:
	s_or_b64 exec, exec, s[4:5]
	v_and_b32_e32 v29, 3, v7
	v_lshlrev_b32_e32 v0, 3, v29
	global_load_dwordx2 v[20:21], v0, s[8:9] offset:16
	s_movk_i32 s4, 0x1f8
	s_movk_i32 s5, 0x3f8
	;; [unrolled: 1-line block ×3, first 2 shown]
	v_and_or_b32 v0, v24, s4, v29
	v_and_or_b32 v1, v33, s5, v29
	;; [unrolled: 1-line block ×3, first 2 shown]
	v_lshl_add_u32 v38, v0, 2, 0
	v_lshl_add_u32 v39, v1, 2, 0
	;; [unrolled: 1-line block ×3, first 2 shown]
	s_waitcnt lgkmcnt(0)
	s_barrier
	s_waitcnt vmcnt(0)
	v_mul_f32_e32 v0, v18, v21
	v_mul_f32_e32 v9, v26, v21
	;; [unrolled: 1-line block ×4, first 2 shown]
	v_fmac_f32_e32 v0, v10, v20
	v_fmac_f32_e32 v9, v13, v20
	;; [unrolled: 1-line block ×4, first 2 shown]
	v_sub_f32_e32 v0, v14, v0
	v_sub_f32_e32 v35, v25, v9
	;; [unrolled: 1-line block ×4, first 2 shown]
	v_fma_f32 v9, v14, 2.0, -v0
	v_fma_f32 v14, v25, 2.0, -v35
	;; [unrolled: 1-line block ×4, first 2 shown]
	ds_write2_b32 v38, v9, v0 offset1:4
	ds_write2_b32 v39, v12, v1 offset1:4
	;; [unrolled: 1-line block ×3, first 2 shown]
	s_and_saveexec_b64 s[4:5], s[2:3]
	s_cbranch_execz .LBB0_33
; %bb.32:
	s_movk_i32 s12, 0x5f8
	v_and_or_b32 v0, v32, s12, v29
	v_lshl_add_u32 v0, v0, 2, 0
	ds_write2_b32 v0, v14, v35 offset1:4
.LBB0_33:
	s_or_b64 exec, exec, s[4:5]
	v_add_u32_e32 v8, 0x900, v30
	s_waitcnt lgkmcnt(0)
	s_barrier
	ds_read2_b32 v[0:1], v30 offset1:176
	ds_read2_b32 v[8:9], v8 offset0:40 offset1:216
	ds_read_b32 v12, v30 offset:1408
	ds_read_b32 v36, v30 offset:3872
	v_lshl_add_u32 v31, v7, 2, 0
	s_and_saveexec_b64 s[4:5], s[2:3]
	s_cbranch_execz .LBB0_35
; %bb.34:
	ds_read_b32 v14, v31 offset:2112
	ds_read_b32 v35, v30 offset:4576
.LBB0_35:
	s_or_b64 exec, exec, s[4:5]
	v_mul_f32_e32 v10, v10, v21
	v_mul_f32_e32 v13, v13, v21
	v_fma_f32 v10, v18, v20, -v10
	v_mul_f32_e32 v11, v11, v21
	v_mul_f32_e32 v15, v23, v21
	v_fma_f32 v13, v26, v20, -v13
	v_fma_f32 v11, v19, v20, -v11
	;; [unrolled: 1-line block ×3, first 2 shown]
	v_sub_f32_e32 v10, v16, v10
	v_sub_f32_e32 v21, v22, v13
	v_fma_f32 v16, v16, 2.0, -v10
	v_sub_f32_e32 v11, v17, v11
	v_sub_f32_e32 v15, v28, v15
	v_fma_f32 v20, v22, 2.0, -v21
	v_fma_f32 v17, v17, 2.0, -v11
	;; [unrolled: 1-line block ×3, first 2 shown]
	s_waitcnt lgkmcnt(0)
	s_barrier
	ds_write2_b32 v38, v16, v10 offset1:4
	ds_write2_b32 v39, v17, v11 offset1:4
	;; [unrolled: 1-line block ×3, first 2 shown]
	s_and_saveexec_b64 s[4:5], s[2:3]
	s_cbranch_execz .LBB0_37
; %bb.36:
	s_movk_i32 s12, 0x5f8
	v_and_or_b32 v10, v32, s12, v29
	v_lshl_add_u32 v10, v10, 2, 0
	ds_write2_b32 v10, v20, v21 offset1:4
.LBB0_37:
	s_or_b64 exec, exec, s[4:5]
	v_add_u32_e32 v10, 0x900, v30
	s_waitcnt lgkmcnt(0)
	s_barrier
	ds_read2_b32 v[22:23], v30 offset1:176
	ds_read2_b32 v[26:27], v10 offset0:40 offset1:216
	ds_read_b32 v25, v30 offset:1408
	ds_read_b32 v39, v30 offset:3872
	s_and_saveexec_b64 s[4:5], s[2:3]
	s_cbranch_execz .LBB0_39
; %bb.38:
	ds_read_b32 v20, v31 offset:2112
	ds_read_b32 v21, v30 offset:4576
.LBB0_39:
	s_or_b64 exec, exec, s[4:5]
	v_and_b32_e32 v38, 7, v7
	v_lshlrev_b32_e32 v10, 3, v38
	global_load_dwordx2 v[28:29], v10, s[8:9] offset:48
	s_movk_i32 s2, 0x1f0
	v_add_f32_e32 v17, v1, v1
	v_mov_b32_e32 v18, v1
	s_movk_i32 s3, 0x3f0
	s_movk_i32 s4, 0x7f0
	v_and_or_b32 v1, v24, s2, v38
	v_and_or_b32 v10, v33, s3, v38
	;; [unrolled: 1-line block ×3, first 2 shown]
	v_lshl_add_u32 v34, v1, 2, 0
	v_lshl_add_u32 v40, v10, 2, 0
	v_add_f32_e32 v13, v14, v14
	v_lshl_add_u32 v33, v11, 2, 0
	v_add_f32_e32 v19, v12, v12
	v_mov_b32_e32 v16, v0
	s_waitcnt lgkmcnt(0)
	s_barrier
	s_waitcnt vmcnt(0)
	v_mul_f32_e32 v1, v21, v29
	v_mul_f32_e32 v10, v39, v29
	v_fmac_f32_e32 v1, v35, v28
	v_fmac_f32_e32 v10, v36, v28
	v_sub_f32_e32 v11, v14, v1
	v_mul_f32_e32 v44, v27, v29
	v_pk_add_f32 v[12:13], v[12:13], v[10:11] neg_lo:[0,1] neg_hi:[0,1]
	v_fmac_f32_e32 v44, v9, v28
	v_mov_b32_e32 v45, v12
	v_mul_f32_e32 v42, v26, v29
	v_pk_add_f32 v[14:15], v[18:19], v[44:45] neg_lo:[0,1] neg_hi:[0,1]
	v_fmac_f32_e32 v42, v8, v28
	v_mov_b32_e32 v43, v14
	v_pk_add_f32 v[16:17], v[16:17], v[42:43] neg_lo:[0,1] neg_hi:[0,1]
	s_nop 0
	v_fma_f32 v0, v0, 2.0, -v16
	ds_write2_b32 v34, v0, v16 offset1:8
	ds_write2_b32 v40, v17, v14 offset1:8
	;; [unrolled: 1-line block ×3, first 2 shown]
	s_and_saveexec_b64 s[2:3], vcc
	s_xor_b64 s[2:3], exec, s[2:3]
	s_andn2_saveexec_b64 s[2:3], s[2:3]
	s_cbranch_execz .LBB0_41
; %bb.40:
	s_movk_i32 s4, 0x5f0
	v_and_or_b32 v1, v32, s4, v38
	v_lshl_add_u32 v1, v1, 2, 0
	ds_write2_b32 v1, v13, v11 offset1:8
.LBB0_41:
	s_or_b64 exec, exec, s[2:3]
	s_movk_i32 s2, 0x70
	v_cmp_gt_u32_e64 s[2:3], s2, v7
	s_waitcnt lgkmcnt(0)
	s_barrier
	s_waitcnt lgkmcnt(0)
                                        ; implicit-def: $vgpr19
                                        ; implicit-def: $vgpr37
	s_and_saveexec_b64 s[4:5], s[2:3]
	s_cbranch_execz .LBB0_43
; %bb.42:
	v_add_u32_e32 v10, 0x200, v30
	ds_read2_b32 v[12:13], v10 offset0:96 offset1:208
	v_add_u32_e32 v10, 0x600, v30
	ds_read2_b32 v[0:1], v30 offset1:112
	ds_read2_b32 v[42:43], v10 offset0:64 offset1:176
	v_add_u32_e32 v10, 0xa00, v30
	v_add_u32_e32 v14, 0xe00, v30
	ds_read2_b32 v[10:11], v10 offset0:32 offset1:144
	ds_read_b32 v37, v31 offset:3584
	ds_read2_b32 v[18:19], v14 offset0:112 offset1:224
	s_waitcnt lgkmcnt(4)
	v_mov_b32_e32 v16, v1
	v_mov_b32_e32 v17, v12
	;; [unrolled: 1-line block ×3, first 2 shown]
	s_waitcnt lgkmcnt(3)
	v_mov_b32_e32 v15, v42
	v_mov_b32_e32 v12, v43
	s_waitcnt lgkmcnt(2)
	v_mov_b32_e32 v13, v10
.LBB0_43:
	s_or_b64 exec, exec, s[4:5]
	v_mul_f32_e32 v1, v8, v29
	v_fma_f32 v43, v26, v28, -v1
	v_mul_f32_e32 v1, v9, v29
	v_mul_f32_e32 v8, v21, v28
	;; [unrolled: 1-line block ×3, first 2 shown]
	v_mov_b32_e32 v9, v22
	v_fma_f32 v45, v27, v28, -v1
	v_add_f32_e32 v21, v22, v22
	v_pk_add_f32 v[26:27], v[8:9], v[42:43] neg_lo:[0,1] neg_hi:[0,1]
	v_mul_f32_e32 v1, v36, v29
	v_pk_add_f32 v[8:9], v[20:21], v[26:27] neg_lo:[0,1] neg_hi:[0,1]
	v_fma_f32 v47, v39, v28, -v1
	v_add_f32_e32 v24, v20, v20
	v_mov_b32_e32 v46, v8
	v_pk_add_f32 v[20:21], v[24:25], v[46:47] neg_lo:[0,1] neg_hi:[0,1]
	v_add_f32_e32 v28, v25, v25
	v_mov_b32_e32 v29, v23
	v_mov_b32_e32 v44, v21
	v_pk_add_f32 v[24:25], v[28:29], v[44:45] neg_lo:[0,1] neg_hi:[0,1]
	s_waitcnt lgkmcnt(0)
	v_fma_f32 v22, v23, 2.0, -v25
	s_barrier
	ds_write2_b32 v34, v9, v27 offset1:8
	ds_write2_b32 v40, v22, v25 offset1:8
	;; [unrolled: 1-line block ×3, first 2 shown]
	s_and_saveexec_b64 s[4:5], vcc
	s_xor_b64 s[4:5], exec, s[4:5]
; %bb.44:
                                        ; implicit-def: $vgpr32
                                        ; implicit-def: $vgpr38
; %bb.45:
	s_andn2_saveexec_b64 s[4:5], s[4:5]
	s_cbranch_execz .LBB0_47
; %bb.46:
	s_movk_i32 s12, 0x5f0
	v_and_or_b32 v1, v32, s12, v38
	v_lshl_add_u32 v1, v1, 2, 0
	ds_write2_b32 v1, v20, v8 offset1:8
.LBB0_47:
	s_or_b64 exec, exec, s[4:5]
	s_waitcnt lgkmcnt(0)
	s_barrier
	s_waitcnt lgkmcnt(0)
                                        ; implicit-def: $vgpr29
                                        ; implicit-def: $vgpr1
	s_and_saveexec_b64 s[4:5], s[2:3]
	s_cbranch_execz .LBB0_49
; %bb.48:
	v_add_u32_e32 v1, 0x200, v30
	ds_read2_b32 v[22:23], v1 offset0:96 offset1:208
	v_add_u32_e32 v1, 0x600, v30
	ds_read2_b32 v[26:27], v30 offset1:112
	ds_read2_b32 v[20:21], v1 offset0:64 offset1:176
	v_add_u32_e32 v1, 0xa00, v30
	v_add_u32_e32 v8, 0xe00, v30
	ds_read2_b32 v[32:33], v1 offset0:32 offset1:144
	ds_read_b32 v1, v31 offset:3584
	ds_read2_b32 v[28:29], v8 offset0:112 offset1:224
	s_waitcnt lgkmcnt(4)
	v_mov_b32_e32 v9, v26
	s_waitcnt lgkmcnt(3)
	v_mov_b32_e32 v24, v20
	v_mov_b32_e32 v25, v23
	s_waitcnt lgkmcnt(2)
	v_mov_b32_e32 v8, v33
	v_mov_b32_e32 v20, v32
.LBB0_49:
	s_or_b64 exec, exec, s[4:5]
	v_and_b32_e32 v23, 15, v7
	v_mul_u32_u24_e32 v10, 10, v23
	v_lshlrev_b32_e32 v10, 3, v10
	global_load_dwordx4 v[42:45], v10, s[8:9] offset:112
	global_load_dwordx4 v[46:49], v10, s[8:9] offset:128
	;; [unrolled: 1-line block ×5, first 2 shown]
	s_waitcnt lgkmcnt(0)
	s_barrier
	s_waitcnt vmcnt(4)
	v_mul_f32_e32 v40, v27, v43
	v_mul_f32_e32 v10, v16, v43
	v_mul_f32_e32 v36, v22, v45
	v_mul_f32_e32 v39, v17, v45
	s_waitcnt vmcnt(3)
	v_mul_f32_e32 v35, v25, v47
	v_mul_f32_e32 v43, v14, v47
	v_mul_f32_e32 v33, v24, v49
	v_mul_f32_e32 v45, v15, v49
	;; [unrolled: 5-line block ×3, first 2 shown]
	s_waitcnt vmcnt(1)
	v_mul_f32_e32 v34, v8, v55
	v_mul_f32_e32 v51, v11, v55
	v_fma_f32 v41, v27, v42, -v10
	v_mul_f32_e32 v27, v1, v57
	v_mul_f32_e32 v10, v37, v57
	v_fmac_f32_e32 v40, v16, v42
	v_fmac_f32_e32 v36, v17, v44
	s_waitcnt vmcnt(0)
	v_mul_f32_e32 v38, v28, v59
	v_mul_f32_e32 v16, v18, v59
	v_fma_f32 v39, v22, v44, -v39
	v_mul_f32_e32 v42, v29, v61
	v_mul_f32_e32 v44, v19, v61
	v_fmac_f32_e32 v35, v14, v46
	v_fma_f32 v22, v25, v46, -v43
	v_fmac_f32_e32 v33, v15, v48
	v_fma_f32 v17, v24, v48, -v45
	;; [unrolled: 2-line block ×8, first 2 shown]
	v_lshrrev_b32_e32 v8, 4, v7
	s_and_saveexec_b64 s[4:5], s[2:3]
	s_cbranch_execz .LBB0_51
; %bb.50:
	v_sub_f32_e32 v10, v41, v19
	v_add_f32_e32 v1, v40, v42
	v_mul_f32_e32 v11, 0xbe903f40, v10
	s_mov_b32 s12, 0xbf75a155
	v_sub_f32_e32 v16, v39, v18
	v_fma_f32 v12, v1, s12, -v11
	v_add_f32_e32 v13, v36, v38
	v_mul_f32_e32 v24, 0x3f0a6770, v16
	s_mov_b32 s13, 0x3f575c64
	v_add_f32_e32 v12, v0, v12
	v_fma_f32 v25, v13, s13, -v24
	v_sub_f32_e32 v28, v22, v21
	v_add_f32_e32 v12, v25, v12
	v_add_f32_e32 v25, v35, v27
	v_mul_f32_e32 v29, 0xbf4178ce, v28
	s_mov_b32 s14, 0xbf27a4f4
	v_fma_f32 v37, v25, s14, -v29
	v_sub_f32_e32 v43, v17, v20
	v_fmac_f32_e32 v11, 0xbf75a155, v1
	v_add_f32_e32 v12, v37, v12
	v_add_f32_e32 v37, v33, v34
	v_mul_f32_e32 v44, 0x3f68dda4, v43
	s_mov_b32 s15, 0x3ed4b147
	v_add_f32_e32 v11, v0, v11
	v_fmac_f32_e32 v24, 0x3f575c64, v13
	v_fma_f32 v45, v37, s15, -v44
	v_sub_f32_e32 v46, v14, v15
	v_add_f32_e32 v11, v24, v11
	v_fmac_f32_e32 v29, 0xbf27a4f4, v25
	v_add_f32_e32 v12, v45, v12
	v_add_f32_e32 v45, v26, v32
	v_mul_f32_e32 v47, 0xbf7d64f0, v46
	s_mov_b32 s16, 0xbe11bafb
	v_add_f32_e32 v11, v29, v11
	v_fmac_f32_e32 v44, 0x3ed4b147, v37
	v_mul_f32_e32 v24, 0xbf4178ce, v10
	v_fma_f32 v48, v45, s16, -v47
	v_add_f32_e32 v11, v44, v11
	v_fmac_f32_e32 v47, 0xbe11bafb, v45
	v_fma_f32 v29, v1, s14, -v24
	v_mul_f32_e32 v44, 0x3f7d64f0, v16
	v_add_f32_e32 v11, v47, v11
	v_add_f32_e32 v29, v0, v29
	v_fma_f32 v47, v13, s16, -v44
	v_add_f32_e32 v29, v47, v29
	v_mul_f32_e32 v47, 0xbf0a6770, v28
	v_add_f32_e32 v12, v48, v12
	v_fma_f32 v48, v25, s13, -v47
	v_fmac_f32_e32 v24, 0xbf27a4f4, v1
	v_add_f32_e32 v29, v48, v29
	v_mul_f32_e32 v48, 0xbe903f40, v43
	v_add_f32_e32 v24, v0, v24
	v_fmac_f32_e32 v44, 0xbe11bafb, v13
	v_fma_f32 v49, v37, s12, -v48
	v_add_f32_e32 v24, v44, v24
	v_fmac_f32_e32 v47, 0x3f575c64, v25
	v_add_f32_e32 v29, v49, v29
	v_mul_f32_e32 v49, 0x3f68dda4, v46
	v_add_f32_e32 v24, v47, v24
	v_fmac_f32_e32 v48, 0xbf75a155, v37
	v_mul_f32_e32 v44, 0xbf7d64f0, v10
	v_fma_f32 v50, v45, s15, -v49
	v_add_f32_e32 v24, v48, v24
	v_fmac_f32_e32 v49, 0x3ed4b147, v45
	v_fma_f32 v47, v1, s16, -v44
	v_mul_f32_e32 v48, 0x3e903f40, v16
	v_add_f32_e32 v24, v49, v24
	v_add_f32_e32 v47, v0, v47
	v_fma_f32 v49, v13, s12, -v48
	v_add_f32_e32 v47, v49, v47
	v_mul_f32_e32 v49, 0x3f68dda4, v28
	v_add_f32_e32 v29, v50, v29
	v_fma_f32 v50, v25, s15, -v49
	v_fmac_f32_e32 v44, 0xbe11bafb, v1
	v_add_f32_e32 v47, v50, v47
	v_mul_f32_e32 v50, 0xbf0a6770, v43
	v_add_f32_e32 v44, v0, v44
	v_fmac_f32_e32 v48, 0xbf75a155, v13
	v_fma_f32 v51, v37, s13, -v50
	v_add_f32_e32 v44, v48, v44
	v_fmac_f32_e32 v49, 0x3ed4b147, v25
	v_add_f32_e32 v47, v51, v47
	v_mul_f32_e32 v51, 0xbf4178ce, v46
	v_add_f32_e32 v44, v49, v44
	v_fmac_f32_e32 v50, 0x3f575c64, v37
	v_mul_f32_e32 v48, 0xbf68dda4, v10
	v_fma_f32 v52, v45, s14, -v51
	v_add_f32_e32 v44, v50, v44
	v_fmac_f32_e32 v51, 0xbf27a4f4, v45
	v_fma_f32 v49, v1, s15, -v48
	v_mul_f32_e32 v50, 0xbf4178ce, v16
	v_fmac_f32_e32 v48, 0x3ed4b147, v1
	v_add_f32_e32 v44, v51, v44
	v_fma_f32 v51, v13, s14, -v50
	v_add_f32_e32 v48, v0, v48
	v_fmac_f32_e32 v50, 0xbf27a4f4, v13
	v_mul_f32_e32 v10, 0xbf0a6770, v10
	v_add_f32_e32 v48, v50, v48
	v_fma_f32 v50, v1, s13, -v10
	v_fmac_f32_e32 v10, 0x3f575c64, v1
	v_add_f32_e32 v49, v0, v49
	v_add_f32_e32 v50, v0, v50
	;; [unrolled: 1-line block ×7, first 2 shown]
	v_mul_f32_e32 v51, 0x3e903f40, v28
	v_add_f32_e32 v0, v0, v33
	v_add_f32_e32 v47, v52, v47
	v_fma_f32 v52, v25, s12, -v51
	v_fmac_f32_e32 v51, 0xbf75a155, v25
	v_mul_f32_e32 v16, 0xbf68dda4, v16
	v_add_f32_e32 v0, v0, v26
	v_add_f32_e32 v49, v52, v49
	v_mul_f32_e32 v52, 0x3f7d64f0, v43
	v_add_f32_e32 v48, v51, v48
	v_fma_f32 v51, v13, s15, -v16
	v_mul_f32_e32 v28, 0xbf7d64f0, v28
	v_fmac_f32_e32 v16, 0x3ed4b147, v13
	v_add_f32_e32 v0, v0, v32
	v_fma_f32 v53, v37, s16, -v52
	v_add_f32_e32 v50, v51, v50
	v_fma_f32 v51, v25, s16, -v28
	v_mul_f32_e32 v43, 0xbf4178ce, v43
	v_add_f32_e32 v1, v16, v1
	v_fmac_f32_e32 v28, 0xbe11bafb, v25
	v_add_f32_e32 v0, v0, v34
	v_add_f32_e32 v49, v53, v49
	v_mul_f32_e32 v53, 0x3f0a6770, v46
	v_add_f32_e32 v50, v51, v50
	v_fma_f32 v51, v37, s14, -v43
	v_mul_f32_e32 v46, 0xbe903f40, v46
	v_add_f32_e32 v1, v28, v1
	v_fmac_f32_e32 v43, 0xbf27a4f4, v37
	v_add_f32_e32 v0, v0, v27
	v_mul_u32_u24_e32 v10, 0xb0, v8
	v_fmac_f32_e32 v52, 0xbe11bafb, v37
	v_add_f32_e32 v50, v51, v50
	v_fma_f32 v51, v45, s12, -v46
	v_add_f32_e32 v1, v43, v1
	v_fmac_f32_e32 v46, 0xbf75a155, v45
	v_add_f32_e32 v0, v0, v38
	v_or_b32_e32 v10, v10, v23
	v_fma_f32 v54, v45, s13, -v53
	v_add_f32_e32 v48, v52, v48
	v_fmac_f32_e32 v53, 0x3f575c64, v45
	v_add_f32_e32 v1, v46, v1
	v_add_f32_e32 v0, v0, v42
	v_lshl_add_u32 v10, v10, 2, 0
	v_add_f32_e32 v49, v54, v49
	v_add_f32_e32 v48, v53, v48
	;; [unrolled: 1-line block ×3, first 2 shown]
	ds_write2_b32 v10, v0, v1 offset1:16
	ds_write2_b32 v10, v48, v44 offset0:32 offset1:48
	ds_write2_b32 v10, v24, v11 offset0:64 offset1:80
	;; [unrolled: 1-line block ×4, first 2 shown]
	ds_write_b32 v10, v50 offset:640
.LBB0_51:
	s_or_b64 exec, exec, s[4:5]
	v_add_u32_e32 v0, 0xa00, v30
	s_waitcnt lgkmcnt(0)
	s_barrier
	ds_read2_b32 v[12:13], v30 offset1:176
	ds_read_b32 v16, v30 offset:1408
	ds_read2_b32 v[0:1], v0 offset0:64 offset1:240
	ds_read_b32 v10, v31 offset:2112
	ds_read_b32 v11, v30 offset:4224
	s_waitcnt lgkmcnt(0)
	s_barrier
	s_and_saveexec_b64 s[4:5], s[2:3]
	s_cbranch_execz .LBB0_53
; %bb.52:
	v_add_f32_e32 v24, v9, v41
	v_add_f32_e32 v24, v24, v39
	;; [unrolled: 1-line block ×11, first 2 shown]
	v_sub_f32_e32 v25, v40, v42
	v_mul_f32_e32 v28, 0x3f575c64, v19
	v_mul_f32_e32 v37, 0x3ed4b147, v19
	;; [unrolled: 1-line block ×5, first 2 shown]
	v_fmamk_f32 v29, v25, 0x3f0a6770, v28
	v_fmac_f32_e32 v28, 0xbf0a6770, v25
	v_fmamk_f32 v40, v25, 0x3f68dda4, v37
	v_fmac_f32_e32 v37, 0xbf68dda4, v25
	;; [unrolled: 2-line block ×5, first 2 shown]
	v_add_f32_e32 v18, v39, v18
	v_add_f32_e32 v29, v9, v29
	;; [unrolled: 1-line block ×11, first 2 shown]
	v_sub_f32_e32 v19, v36, v38
	v_mul_f32_e32 v25, 0x3ed4b147, v18
	v_fmamk_f32 v36, v19, 0x3f68dda4, v25
	v_fmac_f32_e32 v25, 0xbf68dda4, v19
	v_add_f32_e32 v25, v25, v28
	v_mul_f32_e32 v28, 0xbf27a4f4, v18
	v_add_f32_e32 v29, v36, v29
	v_fmamk_f32 v36, v19, 0x3f4178ce, v28
	v_fmac_f32_e32 v28, 0xbf4178ce, v19
	v_add_f32_e32 v28, v28, v37
	v_mul_f32_e32 v37, 0xbf75a155, v18
	v_fmamk_f32 v38, v19, 0xbe903f40, v37
	v_fmac_f32_e32 v37, 0x3e903f40, v19
	v_mul_f32_e32 v39, 0xbe11bafb, v18
	v_mul_f32_e32 v18, 0x3f575c64, v18
	v_add_f32_e32 v37, v37, v41
	v_fmamk_f32 v41, v19, 0xbf0a6770, v18
	v_fmac_f32_e32 v18, 0x3f0a6770, v19
	v_add_f32_e32 v9, v18, v9
	v_add_f32_e32 v18, v22, v21
	;; [unrolled: 1-line block ×3, first 2 shown]
	v_fmamk_f32 v40, v19, 0xbf7d64f0, v39
	v_fmac_f32_e32 v39, 0x3f7d64f0, v19
	v_sub_f32_e32 v19, v35, v27
	v_mul_f32_e32 v21, 0xbe11bafb, v18
	v_fmamk_f32 v22, v19, 0x3f7d64f0, v21
	v_fmac_f32_e32 v21, 0xbf7d64f0, v19
	v_add_f32_e32 v21, v21, v25
	v_mul_f32_e32 v25, 0xbf75a155, v18
	v_fmamk_f32 v27, v19, 0xbe903f40, v25
	v_fmac_f32_e32 v25, 0x3e903f40, v19
	v_add_f32_e32 v25, v25, v28
	v_mul_f32_e32 v28, 0x3ed4b147, v18
	v_add_f32_e32 v22, v22, v29
	v_fmamk_f32 v29, v19, 0xbf68dda4, v28
	v_fmac_f32_e32 v28, 0x3f68dda4, v19
	v_mul_f32_e32 v35, 0x3f575c64, v18
	v_mul_f32_e32 v18, 0xbf27a4f4, v18
	v_add_f32_e32 v28, v28, v37
	v_fmamk_f32 v37, v19, 0x3f4178ce, v18
	v_fmac_f32_e32 v18, 0xbf4178ce, v19
	v_add_f32_e32 v17, v17, v20
	v_add_f32_e32 v27, v27, v36
	v_fmamk_f32 v36, v19, 0x3f0a6770, v35
	v_fmac_f32_e32 v35, 0xbf0a6770, v19
	v_add_f32_e32 v9, v18, v9
	v_sub_f32_e32 v18, v33, v34
	v_mul_f32_e32 v19, 0xbf27a4f4, v17
	v_fmamk_f32 v20, v18, 0x3f4178ce, v19
	v_fmac_f32_e32 v19, 0xbf4178ce, v18
	v_add_f32_e32 v19, v19, v21
	v_mul_f32_e32 v21, 0xbe11bafb, v17
	v_add_f32_e32 v20, v20, v22
	v_fmamk_f32 v22, v18, 0xbf7d64f0, v21
	v_fmac_f32_e32 v21, 0x3f7d64f0, v18
	v_add_f32_e32 v21, v21, v25
	v_mul_f32_e32 v25, 0x3f575c64, v17
	v_add_f32_e32 v22, v22, v27
	v_fmamk_f32 v27, v18, 0x3f0a6770, v25
	v_fmac_f32_e32 v25, 0xbf0a6770, v18
	v_add_f32_e32 v25, v25, v28
	v_mul_f32_e32 v28, 0xbf75a155, v17
	v_mul_f32_e32 v17, 0x3ed4b147, v17
	v_add_f32_e32 v38, v38, v42
	v_fmamk_f32 v33, v18, 0xbf68dda4, v17
	v_fmac_f32_e32 v17, 0x3f68dda4, v18
	v_add_f32_e32 v14, v14, v15
	v_add_f32_e32 v29, v29, v38
	;; [unrolled: 1-line block ×3, first 2 shown]
	v_sub_f32_e32 v15, v26, v32
	v_mul_f32_e32 v17, 0xbf75a155, v14
	v_add_f32_e32 v27, v27, v29
	v_fmamk_f32 v29, v18, 0x3e903f40, v28
	v_fmac_f32_e32 v28, 0xbe903f40, v18
	v_fmamk_f32 v18, v15, 0x3e903f40, v17
	v_fmac_f32_e32 v17, 0xbe903f40, v15
	v_add_f32_e32 v17, v17, v19
	v_mul_f32_e32 v19, 0x3f575c64, v14
	v_add_f32_e32 v18, v18, v20
	v_fmamk_f32 v20, v15, 0xbf0a6770, v19
	v_fmac_f32_e32 v19, 0x3f0a6770, v15
	v_add_f32_e32 v19, v19, v21
	v_mul_f32_e32 v21, 0xbf27a4f4, v14
	v_add_f32_e32 v40, v40, v44
	v_add_f32_e32 v39, v39, v43
	;; [unrolled: 1-line block ×4, first 2 shown]
	v_fmamk_f32 v22, v15, 0x3f4178ce, v21
	v_fmac_f32_e32 v21, 0xbf4178ce, v15
	v_mul_u32_u24_e32 v8, 0xb0, v8
	v_add_f32_e32 v36, v36, v40
	v_add_f32_e32 v35, v35, v39
	;; [unrolled: 1-line block ×4, first 2 shown]
	v_mul_f32_e32 v25, 0x3ed4b147, v14
	v_mul_f32_e32 v14, 0xbe11bafb, v14
	v_or_b32_e32 v8, v8, v23
	v_add_f32_e32 v29, v29, v36
	v_add_f32_e32 v28, v28, v35
	;; [unrolled: 1-line block ×4, first 2 shown]
	v_fmamk_f32 v26, v15, 0xbf68dda4, v25
	v_fmac_f32_e32 v25, 0x3f68dda4, v15
	v_fmamk_f32 v27, v15, 0x3f7d64f0, v14
	v_fmac_f32_e32 v14, 0xbf7d64f0, v15
	v_lshl_add_u32 v8, v8, 2, 0
	v_add_f32_e32 v26, v26, v29
	v_add_f32_e32 v25, v25, v28
	;; [unrolled: 1-line block ×4, first 2 shown]
	ds_write2_b32 v8, v24, v18 offset1:16
	ds_write2_b32 v8, v20, v22 offset0:32 offset1:48
	ds_write2_b32 v8, v26, v27 offset0:64 offset1:80
	ds_write2_b32 v8, v9, v25 offset0:96 offset1:112
	ds_write2_b32 v8, v21, v19 offset0:128 offset1:144
	ds_write_b32 v8, v17 offset:640
.LBB0_53:
	s_or_b64 exec, exec, s[4:5]
	s_waitcnt lgkmcnt(0)
	s_barrier
	s_and_saveexec_b64 s[2:3], s[0:1]
	s_cbranch_execz .LBB0_55
; %bb.54:
	v_mul_u32_u24_e32 v7, 6, v7
	v_lshlrev_b32_e32 v7, 3, v7
	global_load_dwordx4 v[18:21], v7, s[8:9] offset:1408
	global_load_dwordx4 v[22:25], v7, s[8:9] offset:1392
	;; [unrolled: 1-line block ×3, first 2 shown]
	v_mul_lo_u32 v17, s11, v4
	v_mul_lo_u32 v32, s10, v5
	v_mad_u64_u32 v[4:5], s[0:1], s10, v4, 0
	v_add_u32_e32 v33, 0xa00, v30
	ds_read2_b32 v[8:9], v30 offset1:176
	ds_read_b32 v14, v31 offset:2112
	ds_read_b32 v15, v30 offset:4224
	;; [unrolled: 1-line block ×3, first 2 shown]
	v_add3_u32 v5, v5, v32, v17
	ds_read2_b32 v[32:33], v33 offset0:64 offset1:240
	v_lshl_add_u64 v[4:5], v[4:5], 3, s[6:7]
	v_mov_b32_e32 v7, 0
	v_lshl_add_u64 v[2:3], v[2:3], 3, v[4:5]
	v_mov_b32_e32 v30, v12
	v_lshl_add_u64 v[2:3], v[6:7], 3, v[2:3]
	s_waitcnt lgkmcnt(4)
	v_mov_b32_e32 v31, v8
	s_mov_b32 s2, 0xbeae86e6
	s_mov_b32 s3, 0x3f08b237
	;; [unrolled: 1-line block ×5, first 2 shown]
	s_waitcnt vmcnt(2)
	v_mov_b32_e32 v36, v19
	s_waitcnt vmcnt(1)
	v_mul_f32_e32 v35, v13, v23
	s_waitcnt vmcnt(0)
	v_mul_f32_e32 v43, v1, v26
	v_mul_f32_e32 v5, v11, v29
	;; [unrolled: 1-line block ×4, first 2 shown]
	v_mov_b32_e32 v37, v28
	v_mov_b32_e32 v1, v13
	;; [unrolled: 1-line block ×4, first 2 shown]
	s_waitcnt lgkmcnt(0)
	v_mul_f32_e32 v4, v32, v21
	v_mul_f32_e32 v6, v0, v20
	;; [unrolled: 1-line block ×5, first 2 shown]
	v_mov_b32_e32 v16, v18
	v_mov_b32_e32 v17, v29
	;; [unrolled: 1-line block ×4, first 2 shown]
	v_fmac_f32_e32 v43, v33, v27
	v_fma_f32 v7, v15, v28, -v5
	v_fma_f32 v5, v9, v22, -v35
	;; [unrolled: 1-line block ×4, first 2 shown]
	v_pk_mul_f32 v[10:11], v[10:11], v[36:37]
	v_mov_b32_e32 v33, v9
	v_pk_mul_f32 v[0:1], v[0:1], v[40:41]
	v_sub_f32_e32 v24, v5, v7
	v_pk_add_f32 v[4:5], v[4:5], v[6:7]
	v_pk_add_f32 v[6:7], v[12:13], v[34:35]
	v_pk_fma_f32 v[18:19], v[14:15], v[18:19], v[10:11] neg_lo:[0,0,1] neg_hi:[0,0,1]
	v_pk_fma_f32 v[10:11], v[14:15], v[16:17], v[10:11]
	v_pk_fma_f32 v[14:15], v[32:33], v[20:21], v[0:1] neg_lo:[0,0,1] neg_hi:[0,0,1]
	v_pk_fma_f32 v[0:1], v[32:33], v[38:39], v[0:1]
	v_mov_b32_e32 v10, v35
	v_mov_b32_e32 v0, v13
	;; [unrolled: 1-line block ×6, first 2 shown]
	v_fmac_f32_e32 v8, v42, v25
	v_mov_b32_e32 v17, v14
	v_pk_add_f32 v[20:21], v[14:15], v[18:19]
	v_pk_add_f32 v[14:15], v[14:15], v[18:19] neg_lo:[0,1] neg_hi:[0,1]
	v_pk_add_f32 v[0:1], v[0:1], v[10:11] neg_lo:[0,1] neg_hi:[0,1]
	v_sub_f32_e32 v9, v8, v43
	v_add_f32_e32 v22, v8, v43
	v_mov_b32_e32 v23, v18
	v_mov_b32_e32 v25, v1
	;; [unrolled: 1-line block ×4, first 2 shown]
	v_pk_add_f32 v[12:13], v[4:5], v[6:7]
	v_mov_b32_e32 v10, v14
	v_pk_add_f32 v[18:19], v[14:15], v[0:1] neg_lo:[0,1] neg_hi:[0,1]
	v_pk_add_f32 v[26:27], v[24:25], v[8:9] neg_lo:[0,1] neg_hi:[0,1]
	v_mov_b32_e32 v25, v15
	v_pk_add_f32 v[14:15], v[16:17], v[22:23]
	v_pk_mul_f32 v[16:17], v[26:27], s[2:3]
	v_pk_add_f32 v[26:27], v[14:15], v[12:13]
	v_mov_b32_e32 v14, v21
	v_mov_b32_e32 v13, v7
	s_mov_b32 s2, 0x3f4a47b2
	v_mov_b32_e32 v11, v1
	v_mov_b32_e32 v8, v0
	v_pk_add_f32 v[28:29], v[30:31], v[26:27]
	v_pk_add_f32 v[30:31], v[14:15], v[12:13] neg_lo:[0,1] neg_hi:[0,1]
	s_mov_b32 s3, 0x3d64c772
	v_mov_b32_e32 v13, v5
	v_mov_b32_e32 v23, v15
	v_pk_mul_f32 v[0:1], v[18:19], s[4:5]
	v_pk_add_f32 v[10:11], v[10:11], v[8:9]
	v_pk_fma_f32 v[18:19], v[18:19], s[4:5], v[16:17]
	v_pk_mul_f32 v[30:31], v[30:31], s[2:3]
	v_pk_add_f32 v[12:13], v[12:13], v[22:23] neg_lo:[0,1] neg_hi:[0,1]
	s_mov_b32 s4, s3
	s_mov_b32 s5, s2
	;; [unrolled: 1-line block ×3, first 2 shown]
	v_pk_add_f32 v[10:11], v[24:25], v[10:11]
	v_pk_mul_f32 v[14:15], v[12:13], s[4:5]
	v_pk_fma_f32 v[12:13], v[12:13], s[4:5], v[30:31]
	v_pk_fma_f32 v[26:27], v[26:27], s[2:3], v[28:29] op_sel_hi:[1,0,1]
	v_pk_fma_f32 v[18:19], v[10:11], s[0:1], v[18:19] op_sel_hi:[1,0,1]
	v_pk_add_f32 v[12:13], v[12:13], v[26:27]
	v_mov_b32_e32 v23, v7
	v_pk_add_f32 v[32:33], v[12:13], v[18:19]
	v_pk_add_f32 v[12:13], v[12:13], v[18:19] neg_lo:[0,1] neg_hi:[0,1]
	v_mov_b32_e32 v18, v32
	v_mov_b32_e32 v19, v13
	;; [unrolled: 1-line block ×3, first 2 shown]
	global_store_dwordx2 v[2:3], v[18:19], off offset:1408
	v_pk_add_f32 v[4:5], v[22:23], v[4:5] neg_lo:[0,1] neg_hi:[0,1]
	s_mov_b32 s2, 0x3f3bfb3b
	v_pk_add_f32 v[6:7], v[8:9], v[24:25] neg_lo:[0,1] neg_hi:[0,1]
	s_mov_b32 s4, 0xbf5ff5aa
	v_mov_b32_e32 v8, v16
	v_mov_b32_e32 v9, v1
	;; [unrolled: 1-line block ×6, first 2 shown]
	v_pk_fma_f32 v[8:9], v[6:7], s[4:5], v[8:9] op_sel_hi:[1,0,1] neg_lo:[1,0,1] neg_hi:[1,0,1]
	v_pk_fma_f32 v[18:19], v[4:5], s[2:3], v[18:19] op_sel_hi:[1,0,1] neg_lo:[1,0,1] neg_hi:[1,0,1]
	;; [unrolled: 1-line block ×4, first 2 shown]
	v_pk_fma_f32 v[8:9], v[10:11], s[0:1], v[8:9] op_sel_hi:[1,0,1]
	v_pk_fma_f32 v[0:1], v[10:11], s[0:1], v[0:1] op_sel_hi:[1,0,1]
	v_pk_add_f32 v[4:5], v[4:5], v[26:27]
	s_movk_i32 s0, 0x1000
	v_pk_add_f32 v[6:7], v[4:5], v[0:1] neg_lo:[0,1] neg_hi:[0,1]
	v_pk_add_f32 v[0:1], v[4:5], v[0:1]
	v_add_co_u32_e32 v10, vcc, s0, v2
	v_pk_add_f32 v[18:19], v[18:19], v[26:27]
	v_mov_b32_e32 v5, v1
	v_addc_co_u32_e32 v11, vcc, 0, v3, vcc
	v_mov_b32_e32 v1, v7
	v_pk_add_f32 v[20:21], v[18:19], v[8:9]
	v_pk_add_f32 v[8:9], v[18:19], v[8:9] neg_lo:[0,1] neg_hi:[0,1]
	global_store_dwordx2 v[10:11], v[0:1], off offset:1536
	v_add_co_u32_e32 v0, vcc, 0x2000, v2
	v_mov_b32_e32 v18, v20
	v_mov_b32_e32 v19, v9
	;; [unrolled: 1-line block ×5, first 2 shown]
	v_addc_co_u32_e32 v1, vcc, 0, v3, vcc
	global_store_dwordx2 v[2:3], v[28:29], off
	global_store_dwordx2 v[2:3], v[18:19], off offset:2816
	global_store_dwordx2 v[10:11], v[4:5], off offset:128
	;; [unrolled: 1-line block ×4, first 2 shown]
.LBB0_55:
	s_endpgm
	.section	.rodata,"a",@progbits
	.p2align	6, 0x0
	.amdhsa_kernel fft_rtc_back_len1232_factors_2_2_2_2_11_7_wgs_176_tpt_176_halfLds_sp_op_CI_CI_unitstride_sbrr_dirReg
		.amdhsa_group_segment_fixed_size 0
		.amdhsa_private_segment_fixed_size 0
		.amdhsa_kernarg_size 104
		.amdhsa_user_sgpr_count 2
		.amdhsa_user_sgpr_dispatch_ptr 0
		.amdhsa_user_sgpr_queue_ptr 0
		.amdhsa_user_sgpr_kernarg_segment_ptr 1
		.amdhsa_user_sgpr_dispatch_id 0
		.amdhsa_user_sgpr_kernarg_preload_length 0
		.amdhsa_user_sgpr_kernarg_preload_offset 0
		.amdhsa_user_sgpr_private_segment_size 0
		.amdhsa_uses_dynamic_stack 0
		.amdhsa_enable_private_segment 0
		.amdhsa_system_sgpr_workgroup_id_x 1
		.amdhsa_system_sgpr_workgroup_id_y 0
		.amdhsa_system_sgpr_workgroup_id_z 0
		.amdhsa_system_sgpr_workgroup_info 0
		.amdhsa_system_vgpr_workitem_id 0
		.amdhsa_next_free_vgpr 62
		.amdhsa_next_free_sgpr 28
		.amdhsa_accum_offset 64
		.amdhsa_reserve_vcc 1
		.amdhsa_float_round_mode_32 0
		.amdhsa_float_round_mode_16_64 0
		.amdhsa_float_denorm_mode_32 3
		.amdhsa_float_denorm_mode_16_64 3
		.amdhsa_dx10_clamp 1
		.amdhsa_ieee_mode 1
		.amdhsa_fp16_overflow 0
		.amdhsa_tg_split 0
		.amdhsa_exception_fp_ieee_invalid_op 0
		.amdhsa_exception_fp_denorm_src 0
		.amdhsa_exception_fp_ieee_div_zero 0
		.amdhsa_exception_fp_ieee_overflow 0
		.amdhsa_exception_fp_ieee_underflow 0
		.amdhsa_exception_fp_ieee_inexact 0
		.amdhsa_exception_int_div_zero 0
	.end_amdhsa_kernel
	.text
.Lfunc_end0:
	.size	fft_rtc_back_len1232_factors_2_2_2_2_11_7_wgs_176_tpt_176_halfLds_sp_op_CI_CI_unitstride_sbrr_dirReg, .Lfunc_end0-fft_rtc_back_len1232_factors_2_2_2_2_11_7_wgs_176_tpt_176_halfLds_sp_op_CI_CI_unitstride_sbrr_dirReg
                                        ; -- End function
	.section	.AMDGPU.csdata,"",@progbits
; Kernel info:
; codeLenInByte = 7120
; NumSgprs: 34
; NumVgprs: 62
; NumAgprs: 0
; TotalNumVgprs: 62
; ScratchSize: 0
; MemoryBound: 0
; FloatMode: 240
; IeeeMode: 1
; LDSByteSize: 0 bytes/workgroup (compile time only)
; SGPRBlocks: 4
; VGPRBlocks: 7
; NumSGPRsForWavesPerEU: 34
; NumVGPRsForWavesPerEU: 62
; AccumOffset: 64
; Occupancy: 8
; WaveLimiterHint : 1
; COMPUTE_PGM_RSRC2:SCRATCH_EN: 0
; COMPUTE_PGM_RSRC2:USER_SGPR: 2
; COMPUTE_PGM_RSRC2:TRAP_HANDLER: 0
; COMPUTE_PGM_RSRC2:TGID_X_EN: 1
; COMPUTE_PGM_RSRC2:TGID_Y_EN: 0
; COMPUTE_PGM_RSRC2:TGID_Z_EN: 0
; COMPUTE_PGM_RSRC2:TIDIG_COMP_CNT: 0
; COMPUTE_PGM_RSRC3_GFX90A:ACCUM_OFFSET: 15
; COMPUTE_PGM_RSRC3_GFX90A:TG_SPLIT: 0
	.text
	.p2alignl 6, 3212836864
	.fill 256, 4, 3212836864
	.type	__hip_cuid_f80c361b7f60a497,@object ; @__hip_cuid_f80c361b7f60a497
	.section	.bss,"aw",@nobits
	.globl	__hip_cuid_f80c361b7f60a497
__hip_cuid_f80c361b7f60a497:
	.byte	0                               ; 0x0
	.size	__hip_cuid_f80c361b7f60a497, 1

	.ident	"AMD clang version 19.0.0git (https://github.com/RadeonOpenCompute/llvm-project roc-6.4.0 25133 c7fe45cf4b819c5991fe208aaa96edf142730f1d)"
	.section	".note.GNU-stack","",@progbits
	.addrsig
	.addrsig_sym __hip_cuid_f80c361b7f60a497
	.amdgpu_metadata
---
amdhsa.kernels:
  - .agpr_count:     0
    .args:
      - .actual_access:  read_only
        .address_space:  global
        .offset:         0
        .size:           8
        .value_kind:     global_buffer
      - .offset:         8
        .size:           8
        .value_kind:     by_value
      - .actual_access:  read_only
        .address_space:  global
        .offset:         16
        .size:           8
        .value_kind:     global_buffer
      - .actual_access:  read_only
        .address_space:  global
        .offset:         24
        .size:           8
        .value_kind:     global_buffer
      - .actual_access:  read_only
        .address_space:  global
        .offset:         32
        .size:           8
        .value_kind:     global_buffer
      - .offset:         40
        .size:           8
        .value_kind:     by_value
      - .actual_access:  read_only
        .address_space:  global
        .offset:         48
        .size:           8
        .value_kind:     global_buffer
      - .actual_access:  read_only
        .address_space:  global
        .offset:         56
        .size:           8
        .value_kind:     global_buffer
      - .offset:         64
        .size:           4
        .value_kind:     by_value
      - .actual_access:  read_only
        .address_space:  global
        .offset:         72
        .size:           8
        .value_kind:     global_buffer
      - .actual_access:  read_only
        .address_space:  global
        .offset:         80
        .size:           8
        .value_kind:     global_buffer
      - .actual_access:  read_only
        .address_space:  global
        .offset:         88
        .size:           8
        .value_kind:     global_buffer
      - .actual_access:  write_only
        .address_space:  global
        .offset:         96
        .size:           8
        .value_kind:     global_buffer
    .group_segment_fixed_size: 0
    .kernarg_segment_align: 8
    .kernarg_segment_size: 104
    .language:       OpenCL C
    .language_version:
      - 2
      - 0
    .max_flat_workgroup_size: 176
    .name:           fft_rtc_back_len1232_factors_2_2_2_2_11_7_wgs_176_tpt_176_halfLds_sp_op_CI_CI_unitstride_sbrr_dirReg
    .private_segment_fixed_size: 0
    .sgpr_count:     34
    .sgpr_spill_count: 0
    .symbol:         fft_rtc_back_len1232_factors_2_2_2_2_11_7_wgs_176_tpt_176_halfLds_sp_op_CI_CI_unitstride_sbrr_dirReg.kd
    .uniform_work_group_size: 1
    .uses_dynamic_stack: false
    .vgpr_count:     62
    .vgpr_spill_count: 0
    .wavefront_size: 64
amdhsa.target:   amdgcn-amd-amdhsa--gfx950
amdhsa.version:
  - 1
  - 2
...

	.end_amdgpu_metadata
